;; amdgpu-corpus repo=ROCm/rocFFT kind=compiled arch=gfx1201 opt=O3
	.text
	.amdgcn_target "amdgcn-amd-amdhsa--gfx1201"
	.amdhsa_code_object_version 6
	.protected	fft_rtc_fwd_len2400_factors_4_10_10_6_wgs_240_tpt_240_halfLds_half_ip_CI_unitstride_sbrr_R2C_dirReg ; -- Begin function fft_rtc_fwd_len2400_factors_4_10_10_6_wgs_240_tpt_240_halfLds_half_ip_CI_unitstride_sbrr_R2C_dirReg
	.globl	fft_rtc_fwd_len2400_factors_4_10_10_6_wgs_240_tpt_240_halfLds_half_ip_CI_unitstride_sbrr_R2C_dirReg
	.p2align	8
	.type	fft_rtc_fwd_len2400_factors_4_10_10_6_wgs_240_tpt_240_halfLds_half_ip_CI_unitstride_sbrr_R2C_dirReg,@function
fft_rtc_fwd_len2400_factors_4_10_10_6_wgs_240_tpt_240_halfLds_half_ip_CI_unitstride_sbrr_R2C_dirReg: ; @fft_rtc_fwd_len2400_factors_4_10_10_6_wgs_240_tpt_240_halfLds_half_ip_CI_unitstride_sbrr_R2C_dirReg
; %bb.0:
	s_clause 0x2
	s_load_b128 s[4:7], s[0:1], 0x0
	s_load_b64 s[8:9], s[0:1], 0x50
	s_load_b64 s[10:11], s[0:1], 0x18
	v_mul_u32_u24_e32 v1, 0x112, v0
	v_mov_b32_e32 v3, 0
	s_delay_alu instid0(VALU_DEP_2) | instskip(NEXT) | instid1(VALU_DEP_1)
	v_lshrrev_b32_e32 v1, 16, v1
	v_add_nc_u32_e32 v5, ttmp9, v1
	v_mov_b32_e32 v1, 0
	v_mov_b32_e32 v2, 0
	;; [unrolled: 1-line block ×3, first 2 shown]
	s_wait_kmcnt 0x0
	v_cmp_lt_u64_e64 s2, s[6:7], 2
	s_delay_alu instid0(VALU_DEP_1)
	s_and_b32 vcc_lo, exec_lo, s2
	s_cbranch_vccnz .LBB0_8
; %bb.1:
	s_load_b64 s[2:3], s[0:1], 0x10
	v_mov_b32_e32 v1, 0
	v_mov_b32_e32 v2, 0
	s_add_nc_u64 s[12:13], s[10:11], 8
	s_mov_b64 s[14:15], 1
	s_wait_kmcnt 0x0
	s_add_nc_u64 s[16:17], s[2:3], 8
	s_mov_b32 s3, 0
.LBB0_2:                                ; =>This Inner Loop Header: Depth=1
	s_load_b64 s[18:19], s[16:17], 0x0
                                        ; implicit-def: $vgpr7_vgpr8
	s_mov_b32 s2, exec_lo
	s_wait_kmcnt 0x0
	v_or_b32_e32 v4, s19, v6
	s_delay_alu instid0(VALU_DEP_1)
	v_cmpx_ne_u64_e32 0, v[3:4]
	s_wait_alu 0xfffe
	s_xor_b32 s20, exec_lo, s2
	s_cbranch_execz .LBB0_4
; %bb.3:                                ;   in Loop: Header=BB0_2 Depth=1
	s_cvt_f32_u32 s2, s18
	s_cvt_f32_u32 s21, s19
	s_sub_nc_u64 s[24:25], 0, s[18:19]
	s_wait_alu 0xfffe
	s_delay_alu instid0(SALU_CYCLE_1) | instskip(SKIP_1) | instid1(SALU_CYCLE_2)
	s_fmamk_f32 s2, s21, 0x4f800000, s2
	s_wait_alu 0xfffe
	v_s_rcp_f32 s2, s2
	s_delay_alu instid0(TRANS32_DEP_1) | instskip(SKIP_1) | instid1(SALU_CYCLE_2)
	s_mul_f32 s2, s2, 0x5f7ffffc
	s_wait_alu 0xfffe
	s_mul_f32 s21, s2, 0x2f800000
	s_wait_alu 0xfffe
	s_delay_alu instid0(SALU_CYCLE_2) | instskip(SKIP_1) | instid1(SALU_CYCLE_2)
	s_trunc_f32 s21, s21
	s_wait_alu 0xfffe
	s_fmamk_f32 s2, s21, 0xcf800000, s2
	s_cvt_u32_f32 s23, s21
	s_wait_alu 0xfffe
	s_delay_alu instid0(SALU_CYCLE_1) | instskip(SKIP_1) | instid1(SALU_CYCLE_2)
	s_cvt_u32_f32 s22, s2
	s_wait_alu 0xfffe
	s_mul_u64 s[26:27], s[24:25], s[22:23]
	s_wait_alu 0xfffe
	s_mul_hi_u32 s29, s22, s27
	s_mul_i32 s28, s22, s27
	s_mul_hi_u32 s2, s22, s26
	s_mul_i32 s30, s23, s26
	s_wait_alu 0xfffe
	s_add_nc_u64 s[28:29], s[2:3], s[28:29]
	s_mul_hi_u32 s21, s23, s26
	s_mul_hi_u32 s31, s23, s27
	s_add_co_u32 s2, s28, s30
	s_wait_alu 0xfffe
	s_add_co_ci_u32 s2, s29, s21
	s_mul_i32 s26, s23, s27
	s_add_co_ci_u32 s27, s31, 0
	s_wait_alu 0xfffe
	s_add_nc_u64 s[26:27], s[2:3], s[26:27]
	s_wait_alu 0xfffe
	v_add_co_u32 v4, s2, s22, s26
	s_delay_alu instid0(VALU_DEP_1) | instskip(SKIP_1) | instid1(VALU_DEP_1)
	s_cmp_lg_u32 s2, 0
	s_add_co_ci_u32 s23, s23, s27
	v_readfirstlane_b32 s22, v4
	s_wait_alu 0xfffe
	s_delay_alu instid0(VALU_DEP_1)
	s_mul_u64 s[24:25], s[24:25], s[22:23]
	s_wait_alu 0xfffe
	s_mul_hi_u32 s27, s22, s25
	s_mul_i32 s26, s22, s25
	s_mul_hi_u32 s2, s22, s24
	s_mul_i32 s28, s23, s24
	s_wait_alu 0xfffe
	s_add_nc_u64 s[26:27], s[2:3], s[26:27]
	s_mul_hi_u32 s21, s23, s24
	s_mul_hi_u32 s22, s23, s25
	s_wait_alu 0xfffe
	s_add_co_u32 s2, s26, s28
	s_add_co_ci_u32 s2, s27, s21
	s_mul_i32 s24, s23, s25
	s_add_co_ci_u32 s25, s22, 0
	s_wait_alu 0xfffe
	s_add_nc_u64 s[24:25], s[2:3], s[24:25]
	s_wait_alu 0xfffe
	v_add_co_u32 v4, s2, v4, s24
	s_delay_alu instid0(VALU_DEP_1) | instskip(SKIP_1) | instid1(VALU_DEP_1)
	s_cmp_lg_u32 s2, 0
	s_add_co_ci_u32 s2, s23, s25
	v_mul_hi_u32 v13, v5, v4
	s_wait_alu 0xfffe
	v_mad_co_u64_u32 v[7:8], null, v5, s2, 0
	v_mad_co_u64_u32 v[9:10], null, v6, v4, 0
	;; [unrolled: 1-line block ×3, first 2 shown]
	s_delay_alu instid0(VALU_DEP_3) | instskip(SKIP_1) | instid1(VALU_DEP_4)
	v_add_co_u32 v4, vcc_lo, v13, v7
	s_wait_alu 0xfffd
	v_add_co_ci_u32_e32 v7, vcc_lo, 0, v8, vcc_lo
	s_delay_alu instid0(VALU_DEP_2) | instskip(SKIP_1) | instid1(VALU_DEP_2)
	v_add_co_u32 v4, vcc_lo, v4, v9
	s_wait_alu 0xfffd
	v_add_co_ci_u32_e32 v4, vcc_lo, v7, v10, vcc_lo
	s_wait_alu 0xfffd
	v_add_co_ci_u32_e32 v7, vcc_lo, 0, v12, vcc_lo
	s_delay_alu instid0(VALU_DEP_2) | instskip(SKIP_1) | instid1(VALU_DEP_2)
	v_add_co_u32 v4, vcc_lo, v4, v11
	s_wait_alu 0xfffd
	v_add_co_ci_u32_e32 v9, vcc_lo, 0, v7, vcc_lo
	s_delay_alu instid0(VALU_DEP_2) | instskip(SKIP_1) | instid1(VALU_DEP_3)
	v_mul_lo_u32 v10, s19, v4
	v_mad_co_u64_u32 v[7:8], null, s18, v4, 0
	v_mul_lo_u32 v11, s18, v9
	s_delay_alu instid0(VALU_DEP_2) | instskip(NEXT) | instid1(VALU_DEP_2)
	v_sub_co_u32 v7, vcc_lo, v5, v7
	v_add3_u32 v8, v8, v11, v10
	s_delay_alu instid0(VALU_DEP_1) | instskip(SKIP_1) | instid1(VALU_DEP_1)
	v_sub_nc_u32_e32 v10, v6, v8
	s_wait_alu 0xfffd
	v_subrev_co_ci_u32_e64 v10, s2, s19, v10, vcc_lo
	v_add_co_u32 v11, s2, v4, 2
	s_wait_alu 0xf1ff
	v_add_co_ci_u32_e64 v12, s2, 0, v9, s2
	v_sub_co_u32 v13, s2, v7, s18
	v_sub_co_ci_u32_e32 v8, vcc_lo, v6, v8, vcc_lo
	s_wait_alu 0xf1ff
	v_subrev_co_ci_u32_e64 v10, s2, 0, v10, s2
	s_delay_alu instid0(VALU_DEP_3) | instskip(NEXT) | instid1(VALU_DEP_3)
	v_cmp_le_u32_e32 vcc_lo, s18, v13
	v_cmp_eq_u32_e64 s2, s19, v8
	s_wait_alu 0xfffd
	v_cndmask_b32_e64 v13, 0, -1, vcc_lo
	v_cmp_le_u32_e32 vcc_lo, s19, v10
	s_wait_alu 0xfffd
	v_cndmask_b32_e64 v14, 0, -1, vcc_lo
	v_cmp_le_u32_e32 vcc_lo, s18, v7
	;; [unrolled: 3-line block ×3, first 2 shown]
	s_wait_alu 0xfffd
	v_cndmask_b32_e64 v15, 0, -1, vcc_lo
	v_cmp_eq_u32_e32 vcc_lo, s19, v10
	s_wait_alu 0xf1ff
	s_delay_alu instid0(VALU_DEP_2)
	v_cndmask_b32_e64 v7, v15, v7, s2
	s_wait_alu 0xfffd
	v_cndmask_b32_e32 v10, v14, v13, vcc_lo
	v_add_co_u32 v13, vcc_lo, v4, 1
	s_wait_alu 0xfffd
	v_add_co_ci_u32_e32 v14, vcc_lo, 0, v9, vcc_lo
	s_delay_alu instid0(VALU_DEP_3) | instskip(SKIP_2) | instid1(VALU_DEP_3)
	v_cmp_ne_u32_e32 vcc_lo, 0, v10
	s_wait_alu 0xfffd
	v_cndmask_b32_e32 v10, v13, v11, vcc_lo
	v_cndmask_b32_e32 v8, v14, v12, vcc_lo
	v_cmp_ne_u32_e32 vcc_lo, 0, v7
	s_wait_alu 0xfffd
	s_delay_alu instid0(VALU_DEP_2)
	v_dual_cndmask_b32 v7, v4, v10 :: v_dual_cndmask_b32 v8, v9, v8
.LBB0_4:                                ;   in Loop: Header=BB0_2 Depth=1
	s_wait_alu 0xfffe
	s_and_not1_saveexec_b32 s2, s20
	s_cbranch_execz .LBB0_6
; %bb.5:                                ;   in Loop: Header=BB0_2 Depth=1
	v_cvt_f32_u32_e32 v4, s18
	s_sub_co_i32 s20, 0, s18
	s_delay_alu instid0(VALU_DEP_1) | instskip(NEXT) | instid1(TRANS32_DEP_1)
	v_rcp_iflag_f32_e32 v4, v4
	v_mul_f32_e32 v4, 0x4f7ffffe, v4
	s_delay_alu instid0(VALU_DEP_1) | instskip(SKIP_1) | instid1(VALU_DEP_1)
	v_cvt_u32_f32_e32 v4, v4
	s_wait_alu 0xfffe
	v_mul_lo_u32 v7, s20, v4
	s_delay_alu instid0(VALU_DEP_1) | instskip(NEXT) | instid1(VALU_DEP_1)
	v_mul_hi_u32 v7, v4, v7
	v_add_nc_u32_e32 v4, v4, v7
	s_delay_alu instid0(VALU_DEP_1) | instskip(NEXT) | instid1(VALU_DEP_1)
	v_mul_hi_u32 v4, v5, v4
	v_mul_lo_u32 v7, v4, s18
	v_add_nc_u32_e32 v8, 1, v4
	s_delay_alu instid0(VALU_DEP_2) | instskip(NEXT) | instid1(VALU_DEP_1)
	v_sub_nc_u32_e32 v7, v5, v7
	v_subrev_nc_u32_e32 v9, s18, v7
	v_cmp_le_u32_e32 vcc_lo, s18, v7
	s_wait_alu 0xfffd
	s_delay_alu instid0(VALU_DEP_2) | instskip(NEXT) | instid1(VALU_DEP_1)
	v_dual_cndmask_b32 v7, v7, v9 :: v_dual_cndmask_b32 v4, v4, v8
	v_cmp_le_u32_e32 vcc_lo, s18, v7
	s_delay_alu instid0(VALU_DEP_2) | instskip(SKIP_1) | instid1(VALU_DEP_1)
	v_add_nc_u32_e32 v8, 1, v4
	s_wait_alu 0xfffd
	v_dual_cndmask_b32 v7, v4, v8 :: v_dual_mov_b32 v8, v3
.LBB0_6:                                ;   in Loop: Header=BB0_2 Depth=1
	s_wait_alu 0xfffe
	s_or_b32 exec_lo, exec_lo, s2
	s_load_b64 s[20:21], s[12:13], 0x0
	s_delay_alu instid0(VALU_DEP_1)
	v_mul_lo_u32 v4, v8, s18
	v_mul_lo_u32 v11, v7, s19
	v_mad_co_u64_u32 v[9:10], null, v7, s18, 0
	s_add_nc_u64 s[14:15], s[14:15], 1
	s_add_nc_u64 s[12:13], s[12:13], 8
	s_wait_alu 0xfffe
	v_cmp_ge_u64_e64 s2, s[14:15], s[6:7]
	s_add_nc_u64 s[16:17], s[16:17], 8
	s_delay_alu instid0(VALU_DEP_2) | instskip(NEXT) | instid1(VALU_DEP_3)
	v_add3_u32 v4, v10, v11, v4
	v_sub_co_u32 v5, vcc_lo, v5, v9
	s_wait_alu 0xfffd
	s_delay_alu instid0(VALU_DEP_2) | instskip(SKIP_3) | instid1(VALU_DEP_2)
	v_sub_co_ci_u32_e32 v4, vcc_lo, v6, v4, vcc_lo
	s_and_b32 vcc_lo, exec_lo, s2
	s_wait_kmcnt 0x0
	v_mul_lo_u32 v6, s21, v5
	v_mul_lo_u32 v4, s20, v4
	v_mad_co_u64_u32 v[1:2], null, s20, v5, v[1:2]
	s_delay_alu instid0(VALU_DEP_1)
	v_add3_u32 v2, v6, v2, v4
	s_wait_alu 0xfffe
	s_cbranch_vccnz .LBB0_9
; %bb.7:                                ;   in Loop: Header=BB0_2 Depth=1
	v_dual_mov_b32 v5, v7 :: v_dual_mov_b32 v6, v8
	s_branch .LBB0_2
.LBB0_8:
	v_dual_mov_b32 v8, v6 :: v_dual_mov_b32 v7, v5
.LBB0_9:
	s_lshl_b64 s[2:3], s[6:7], 3
	v_mul_hi_u32 v3, 0x1111112, v0
	s_wait_alu 0xfffe
	s_add_nc_u64 s[2:3], s[10:11], s[2:3]
	s_load_b64 s[2:3], s[2:3], 0x0
	s_load_b64 s[0:1], s[0:1], 0x20
	s_delay_alu instid0(VALU_DEP_1) | instskip(NEXT) | instid1(VALU_DEP_1)
	v_mul_u32_u24_e32 v3, 0xf0, v3
	v_sub_nc_u32_e32 v0, v0, v3
	s_delay_alu instid0(VALU_DEP_1)
	v_add_nc_u32_e32 v4, 0xf0, v0
	s_wait_kmcnt 0x0
	v_mul_lo_u32 v5, s2, v8
	v_mul_lo_u32 v6, s3, v7
	v_mad_co_u64_u32 v[1:2], null, s2, v7, v[1:2]
	v_cmp_gt_u64_e32 vcc_lo, s[0:1], v[7:8]
	v_cmp_le_u64_e64 s0, s[0:1], v[7:8]
	s_delay_alu instid0(VALU_DEP_3) | instskip(SKIP_1) | instid1(VALU_DEP_3)
	v_add3_u32 v2, v6, v2, v5
	v_add_nc_u32_e32 v6, 0x1e0, v0
	s_and_saveexec_b32 s1, s0
	s_wait_alu 0xfffe
	s_xor_b32 s0, exec_lo, s1
; %bb.10:
	v_add_nc_u32_e32 v4, 0xf0, v0
	v_add_nc_u32_e32 v6, 0x1e0, v0
; %bb.11:
	s_wait_alu 0xfffe
	s_or_saveexec_b32 s1, s0
	v_lshlrev_b64_e32 v[2:3], 2, v[1:2]
	v_lshl_add_u32 v10, v0, 2, 0
	s_wait_alu 0xfffe
	s_xor_b32 exec_lo, exec_lo, s1
	s_cbranch_execz .LBB0_13
; %bb.12:
	v_mov_b32_e32 v1, 0
	v_add_nc_u32_e32 v17, 0xf00, v10
	v_add_nc_u32_e32 v18, 0x1680, v10
	;; [unrolled: 1-line block ×3, first 2 shown]
	s_delay_alu instid0(VALU_DEP_4) | instskip(SKIP_3) | instid1(VALU_DEP_2)
	v_lshlrev_b64_e32 v[7:8], 2, v[0:1]
	v_add_co_u32 v1, s0, s8, v2
	s_wait_alu 0xf1ff
	v_add_co_ci_u32_e64 v5, s0, s9, v3, s0
	v_add_co_u32 v7, s0, v1, v7
	s_wait_alu 0xf1ff
	s_delay_alu instid0(VALU_DEP_2)
	v_add_co_ci_u32_e64 v8, s0, v5, v8, s0
	s_clause 0x9
	global_load_b32 v1, v[7:8], off
	global_load_b32 v5, v[7:8], off offset:960
	global_load_b32 v9, v[7:8], off offset:1920
	;; [unrolled: 1-line block ×9, first 2 shown]
	v_add_nc_u32_e32 v8, 0x780, v10
	s_wait_loadcnt 0x8
	ds_store_2addr_b32 v10, v1, v5 offset1:240
	s_wait_loadcnt 0x6
	ds_store_2addr_b32 v8, v9, v11 offset1:240
	;; [unrolled: 2-line block ×5, first 2 shown]
.LBB0_13:
	s_or_b32 exec_lo, exec_lo, s1
	v_add_nc_u32_e32 v1, 0x600, v10
	v_add_nc_u32_e32 v5, 0xd00, v10
	;; [unrolled: 1-line block ×4, first 2 shown]
	global_wb scope:SCOPE_SE
	s_wait_dscnt 0x0
	s_barrier_signal -1
	s_barrier_wait -1
	global_inv scope:SCOPE_SE
	ds_load_2addr_b32 v[12:13], v1 offset0:96 offset1:216
	v_add_nc_u32_e32 v1, 0x12c0, v10
	ds_load_2addr_b32 v[14:15], v5 offset0:8 offset1:248
	ds_load_2addr_b32 v[16:17], v7 offset0:16 offset1:136
	;; [unrolled: 1-line block ×3, first 2 shown]
	ds_load_2addr_b32 v[20:21], v10 offset1:240
	ds_load_2addr_b32 v[22:23], v1 offset1:240
	v_mad_u32_u24 v24, v0, 12, v10
	v_lshl_add_u32 v8, v4, 4, 0
	global_wb scope:SCOPE_SE
	s_wait_dscnt 0x0
	s_barrier_signal -1
	s_barrier_wait -1
	global_inv scope:SCOPE_SE
	v_pk_add_f16 v5, v15, v19 neg_lo:[0,1] neg_hi:[0,1]
	v_pk_add_f16 v9, v12, v16 neg_lo:[0,1] neg_hi:[0,1]
	v_pk_add_f16 v16, v21, v23 neg_lo:[0,1] neg_hi:[0,1]
	v_pk_add_f16 v18, v14, v18 neg_lo:[0,1] neg_hi:[0,1]
	v_pk_add_f16 v19, v20, v22 neg_lo:[0,1] neg_hi:[0,1]
	v_pk_add_f16 v17, v13, v17 neg_lo:[0,1] neg_hi:[0,1]
	v_pk_fma_f16 v11, v12, 2.0, v9 op_sel_hi:[1,0,1] neg_lo:[0,0,1] neg_hi:[0,0,1]
	v_pk_fma_f16 v7, v15, 2.0, v5 op_sel_hi:[1,0,1] neg_lo:[0,0,1] neg_hi:[0,0,1]
	v_pk_add_f16 v1, v9, v5 op_sel:[0,1] op_sel_hi:[1,0] neg_lo:[0,1] neg_hi:[0,1]
	v_pk_add_f16 v12, v9, v5 op_sel:[0,1] op_sel_hi:[1,0]
	v_pk_fma_f16 v5, v21, 2.0, v16 op_sel_hi:[1,0,1] neg_lo:[0,0,1] neg_hi:[0,0,1]
	v_pk_fma_f16 v14, v14, 2.0, v18 op_sel_hi:[1,0,1] neg_lo:[0,0,1] neg_hi:[0,0,1]
	v_alignbit_b32 v22, s0, v16, 16
	v_alignbit_b32 v23, s0, v17, 16
	;; [unrolled: 1-line block ×4, first 2 shown]
	v_pk_add_f16 v14, v5, v14 neg_lo:[0,1] neg_hi:[0,1]
	v_pk_fma_f16 v20, v20, 2.0, v19 op_sel_hi:[1,0,1] neg_lo:[0,0,1] neg_hi:[0,0,1]
	v_pk_fma_f16 v13, v13, 2.0, v17 op_sel_hi:[1,0,1] neg_lo:[0,0,1] neg_hi:[0,0,1]
	v_pk_add_f16 v18, v22, v18
	v_pk_add_f16 v17, v25, v17
	v_pk_fma_f16 v22, v5, 2.0, v14 op_sel_hi:[1,0,1] neg_lo:[0,0,1] neg_hi:[0,0,1]
	v_pk_add_f16 v5, v19, v23 neg_lo:[0,1] neg_hi:[0,1]
	v_lshrrev_b32_e32 v23, 16, v19
	v_lshrrev_b32_e32 v21, 16, v16
	v_pk_add_f16 v15, v16, v15 neg_lo:[0,1] neg_hi:[0,1]
	v_pk_add_f16 v13, v20, v13 neg_lo:[0,1] neg_hi:[0,1]
	v_fma_f16 v19, v19, 2.0, -v5
	v_fma_f16 v23, v23, 2.0, -v17
	v_fma_f16 v21, v21, 2.0, -v18
	v_fma_f16 v16, v16, 2.0, -v15
	v_pk_fma_f16 v20, v20, 2.0, v13 op_sel_hi:[1,0,1] neg_lo:[0,0,1] neg_hi:[0,0,1]
	v_pack_b32_f16 v17, v5, v17
	v_pack_b32_f16 v19, v19, v23
	v_cmp_lt_u32_e64 s0, 0x77, v0
	v_lshrrev_b32_e32 v5, 16, v12
	v_pack_b32_f16 v16, v16, v21
	v_pack_b32_f16 v15, v15, v18
	ds_store_2addr_b32 v24, v20, v19 offset1:1
	ds_store_2addr_b32 v24, v13, v17 offset0:2 offset1:3
	ds_store_2addr_b32 v8, v22, v16 offset1:1
	ds_store_2addr_b32 v8, v14, v15 offset0:2 offset1:3
	s_and_saveexec_b32 s1, s0
	s_wait_alu 0xfffe
	s_xor_b32 s0, exec_lo, s1
; %bb.14:
                                        ; implicit-def: $vgpr12
                                        ; implicit-def: $vgpr9
; %bb.15:
	s_wait_alu 0xfffe
	s_or_saveexec_b32 s0, s0
	v_pk_add_f16 v7, v11, v7 neg_lo:[0,1] neg_hi:[0,1]
	s_wait_alu 0xfffe
	s_xor_b32 exec_lo, exec_lo, s0
	s_cbranch_execz .LBB0_17
; %bb.16:
	v_bfi_b32 v12, 0xffff, v1, v12
	v_lshl_add_u32 v13, v6, 4, 0
	v_pk_fma_f16 v11, v11, 2.0, v7 op_sel_hi:[1,0,1] neg_lo:[0,0,1] neg_hi:[0,0,1]
	s_delay_alu instid0(VALU_DEP_3)
	v_pk_fma_f16 v9, v9, 2.0, v12 op_sel_hi:[1,0,1] neg_lo:[0,0,1] neg_hi:[0,0,1]
	ds_store_2addr_b32 v13, v11, v9 offset1:1
	ds_store_2addr_b32 v13, v7, v12 offset0:2 offset1:3
.LBB0_17:
	s_or_b32 exec_lo, exec_lo, s0
	v_and_b32_e32 v28, 3, v0
	global_wb scope:SCOPE_SE
	s_wait_dscnt 0x0
	s_barrier_signal -1
	s_barrier_wait -1
	global_inv scope:SCOPE_SE
	v_mul_u32_u24_e32 v9, 9, v28
	v_and_b32_e32 v22, 0xff, v0
	v_add_nc_u32_e32 v12, 0xb40, v10
	v_add_nc_u32_e32 v13, 0x12c0, v10
	v_lshrrev_b32_e32 v26, 2, v0
	v_lshlrev_b32_e32 v9, 2, v9
	v_mul_lo_u16 v27, 0xcd, v22
	v_add_nc_u32_e32 v30, 0x1a40, v10
	v_lshl_add_u32 v11, v6, 2, 0
	v_mul_u32_u24_e32 v36, 40, v26
	s_clause 0x2
	global_load_b128 v[14:17], v9, s[4:5]
	global_load_b128 v[18:21], v9, s[4:5] offset:16
	global_load_b32 v29, v9, s[4:5] offset:32
	v_mad_i32_i24 v9, v4, -12, v8
	ds_load_b32 v31, v10
	ds_load_b32 v32, v10 offset:8640
	ds_load_2addr_b32 v[22:23], v13 offset1:240
	ds_load_2addr_b32 v[24:25], v30 offset1:240
	ds_load_b32 v33, v9
	ds_load_b32 v34, v11
	v_lshrrev_b16 v35, 13, v27
	ds_load_2addr_b32 v[26:27], v12 offset1:240
	v_or_b32_e32 v28, v36, v28
	global_wb scope:SCOPE_SE
	s_wait_loadcnt_dscnt 0x0
	s_barrier_signal -1
	v_mul_lo_u16 v37, v35, 40
	s_barrier_wait -1
	v_lshl_add_u32 v28, v28, 2, 0
	global_inv scope:SCOPE_SE
	v_cmp_gt_u32_e64 s0, 0xa0, v0
	v_sub_nc_u16 v36, v0, v37
	s_delay_alu instid0(VALU_DEP_1)
	v_and_b32_e32 v36, 0xff, v36
	v_lshrrev_b32_e32 v39, 16, v23
	v_lshrrev_b32_e32 v40, 16, v24
	;; [unrolled: 1-line block ×10, first 2 shown]
	v_mul_u32_u24_e32 v43, 9, v36
	s_delay_alu instid0(VALU_DEP_1)
	v_lshlrev_b32_e32 v43, 2, v43
	v_lshrrev_b32_e32 v48, 16, v14
	v_lshrrev_b32_e32 v49, 16, v15
	;; [unrolled: 1-line block ×9, first 2 shown]
	v_mul_f16_e32 v57, v48, v42
	v_mul_f16_e32 v48, v48, v33
	;; [unrolled: 1-line block ×18, first 2 shown]
	v_fma_f16 v33, v14, v33, -v57
	v_fmac_f16_e32 v48, v14, v42
	v_fma_f16 v14, v15, v34, -v58
	v_fmac_f16_e32 v49, v15, v44
	;; [unrolled: 2-line block ×9, first 2 shown]
	v_add_f16_e32 v22, v31, v14
	v_add_f16_e32 v23, v16, v18
	v_sub_f16_e32 v24, v49, v55
	v_sub_f16_e32 v26, v14, v16
	;; [unrolled: 1-line block ×3, first 2 shown]
	v_add_f16_e32 v29, v14, v20
	v_add_f16_e32 v38, v37, v49
	;; [unrolled: 1-line block ×3, first 2 shown]
	v_sub_f16_e32 v41, v49, v51
	v_add_f16_e32 v44, v49, v55
	v_sub_f16_e32 v45, v51, v49
	v_add_f16_e32 v47, v33, v15
	v_add_f16_e32 v49, v17, v19
	;; [unrolled: 1-line block ×5, first 2 shown]
	v_sub_f16_e32 v32, v16, v14
	v_sub_f16_e32 v34, v18, v20
	v_sub_f16_e32 v40, v16, v18
	v_sub_f16_e32 v42, v55, v53
	v_sub_f16_e32 v57, v50, v56
	v_sub_f16_e32 v59, v15, v17
	v_sub_f16_e32 v62, v17, v15
	v_add_f16_e32 v64, v48, v50
	v_sub_f16_e32 v15, v15, v21
	v_sub_f16_e32 v66, v17, v19
	v_add_f16_e32 v16, v22, v16
	v_fma_f16 v22, -0.5, v23, v31
	v_add_f16_e32 v23, v26, v27
	v_fmac_f16_e32 v31, -0.5, v29
	v_add_f16_e32 v27, v38, v51
	v_fma_f16 v29, -0.5, v39, v37
	v_fmac_f16_e32 v37, -0.5, v44
	v_add_f16_e32 v17, v47, v17
	v_fma_f16 v38, -0.5, v49, v33
	v_fma_f16 v44, -0.5, v65, v48
	v_sub_f16_e32 v58, v52, v54
	v_fmac_f16_e32 v33, -0.5, v61
	v_fmac_f16_e32 v48, -0.5, v69
	v_sub_f16_e32 v46, v53, v55
	v_sub_f16_e32 v60, v21, v19
	;; [unrolled: 1-line block ×7, first 2 shown]
	v_add_f16_e32 v26, v32, v34
	v_add_f16_e32 v32, v41, v42
	;; [unrolled: 1-line block ×4, first 2 shown]
	v_fmamk_f16 v19, v57, 0x3b9c, v38
	v_fmamk_f16 v52, v15, 0xbb9c, v44
	v_sub_f16_e32 v25, v51, v53
	v_add_f16_e32 v27, v27, v53
	v_fmamk_f16 v51, v58, 0xbb9c, v33
	v_fmac_f16_e32 v33, 0x3b9c, v58
	v_fmamk_f16 v53, v66, 0x3b9c, v48
	v_fmac_f16_e32 v48, 0xbb9c, v66
	v_sub_f16_e32 v14, v14, v20
	v_fmac_f16_e32 v38, 0xbb9c, v57
	v_fmac_f16_e32 v44, 0x3b9c, v15
	v_add_f16_e32 v34, v45, v46
	v_add_f16_e32 v39, v59, v60
	;; [unrolled: 1-line block ×5, first 2 shown]
	v_fmamk_f16 v50, v40, 0x3b9c, v37
	v_fmac_f16_e32 v37, 0xbb9c, v40
	v_add_f16_e32 v42, v42, v54
	v_fmac_f16_e32 v19, 0x38b4, v58
	v_fmac_f16_e32 v52, 0xb8b4, v66
	v_add_f16_e32 v41, v62, v63
	v_fmamk_f16 v18, v24, 0x3b9c, v22
	v_fmac_f16_e32 v22, 0xbb9c, v24
	v_fmamk_f16 v47, v25, 0xbb9c, v31
	v_fmac_f16_e32 v31, 0x3b9c, v25
	v_fmac_f16_e32 v51, 0x38b4, v57
	;; [unrolled: 1-line block ×5, first 2 shown]
	v_fmamk_f16 v49, v14, 0xbb9c, v29
	v_fmac_f16_e32 v29, 0x3b9c, v14
	v_fmac_f16_e32 v38, 0xb8b4, v58
	;; [unrolled: 1-line block ×3, first 2 shown]
	v_add_f16_e32 v16, v16, v20
	v_add_f16_e32 v20, v27, v55
	v_fmac_f16_e32 v50, 0xb8b4, v14
	v_fmac_f16_e32 v37, 0x38b4, v14
	v_add_f16_e32 v14, v17, v21
	v_add_f16_e32 v17, v42, v56
	v_fmac_f16_e32 v19, 0x34f2, v39
	v_fmac_f16_e32 v52, 0x34f2, v45
	;; [unrolled: 1-line block ×14, first 2 shown]
	v_add_f16_e32 v15, v16, v14
	v_add_f16_e32 v21, v20, v17
	v_sub_f16_e32 v14, v16, v14
	v_sub_f16_e32 v16, v20, v17
	v_mul_f16_e32 v17, 0x38b4, v52
	v_mul_f16_e32 v25, 0xb8b4, v19
	v_fmac_f16_e32 v18, 0x34f2, v23
	v_fmac_f16_e32 v22, 0x34f2, v23
	;; [unrolled: 1-line block ×4, first 2 shown]
	v_mul_f16_e32 v20, 0x3b9c, v53
	v_mul_f16_e32 v23, 0x34f2, v33
	;; [unrolled: 1-line block ×4, first 2 shown]
	v_fmac_f16_e32 v49, 0x34f2, v32
	v_fmac_f16_e32 v29, 0x34f2, v32
	v_mul_f16_e32 v24, 0x3a79, v38
	v_mul_f16_e32 v32, 0x3a79, v44
	v_fmac_f16_e32 v17, 0x3a79, v19
	v_fmac_f16_e32 v25, 0x3a79, v52
	;; [unrolled: 1-line block ×4, first 2 shown]
	v_pack_b32_f16 v15, v15, v21
	v_pack_b32_f16 v14, v14, v16
	v_fmac_f16_e32 v20, 0x34f2, v51
	v_fma_f16 v16, v48, 0x3b9c, -v23
	v_fmac_f16_e32 v26, 0x34f2, v53
	v_fma_f16 v21, v33, 0xbb9c, -v27
	v_fma_f16 v19, v44, 0x38b4, -v24
	;; [unrolled: 1-line block ×3, first 2 shown]
	v_add_f16_e32 v24, v18, v17
	v_add_f16_e32 v34, v49, v25
	;; [unrolled: 1-line block ×8, first 2 shown]
	v_sub_f16_e32 v17, v18, v17
	v_sub_f16_e32 v18, v47, v20
	v_sub_f16_e32 v19, v22, v19
	v_sub_f16_e32 v20, v49, v25
	v_sub_f16_e32 v22, v50, v26
	v_sub_f16_e32 v16, v31, v16
	v_sub_f16_e32 v21, v37, v21
	v_sub_f16_e32 v23, v29, v23
	v_pack_b32_f16 v24, v24, v34
	v_pack_b32_f16 v25, v27, v38
	;; [unrolled: 1-line block ×8, first 2 shown]
	ds_store_2addr_b32 v28, v15, v24 offset1:4
	ds_store_2addr_b32 v28, v25, v26 offset0:8 offset1:12
	ds_store_2addr_b32 v28, v27, v14 offset0:16 offset1:20
	;; [unrolled: 1-line block ×4, first 2 shown]
	global_wb scope:SCOPE_SE
	s_wait_dscnt 0x0
	s_barrier_signal -1
	s_barrier_wait -1
	global_inv scope:SCOPE_SE
	s_clause 0x2
	global_load_b128 v[14:17], v43, s[4:5] offset:144
	global_load_b128 v[18:21], v43, s[4:5] offset:160
	global_load_b32 v26, v43, s[4:5] offset:176
	v_and_b32_e32 v22, 0xffff, v35
	v_lshlrev_b32_e32 v29, 2, v36
	s_delay_alu instid0(VALU_DEP_2)
	v_mul_u32_u24_e32 v27, 0x640, v22
	ds_load_b32 v28, v10
	ds_load_2addr_b32 v[22:23], v13 offset1:240
	ds_load_2addr_b32 v[24:25], v30 offset1:240
	ds_load_b32 v30, v10 offset:8640
	ds_load_b32 v9, v9
	ds_load_b32 v31, v11
	ds_load_2addr_b32 v[12:13], v12 offset1:240
	global_wb scope:SCOPE_SE
	s_wait_loadcnt_dscnt 0x0
	s_barrier_signal -1
	v_add3_u32 v27, 0, v27, v29
	s_barrier_wait -1
	global_inv scope:SCOPE_SE
	v_add_nc_u32_e32 v29, 0x200, v27
	v_add_nc_u32_e32 v32, 0x400, v27
	v_lshrrev_b32_e32 v37, 16, v30
	v_lshrrev_b32_e32 v34, 16, v23
	;; [unrolled: 1-line block ×19, first 2 shown]
	v_mul_f16_e32 v52, v43, v38
	v_mul_f16_e32 v43, v43, v9
	;; [unrolled: 1-line block ×18, first 2 shown]
	v_fma_f16 v9, v14, v9, -v52
	v_fmac_f16_e32 v43, v14, v38
	v_fma_f16 v14, v15, v31, -v53
	v_fmac_f16_e32 v44, v15, v39
	;; [unrolled: 2-line block ×9, first 2 shown]
	v_add_f16_e32 v20, v28, v14
	v_add_f16_e32 v21, v13, v16
	v_sub_f16_e32 v22, v44, v50
	v_sub_f16_e32 v24, v14, v13
	;; [unrolled: 1-line block ×3, first 2 shown]
	v_add_f16_e32 v26, v14, v18
	v_add_f16_e32 v34, v33, v44
	;; [unrolled: 1-line block ×3, first 2 shown]
	v_sub_f16_e32 v37, v44, v46
	v_add_f16_e32 v39, v44, v50
	v_sub_f16_e32 v40, v46, v44
	v_add_f16_e32 v42, v9, v12
	v_add_f16_e32 v44, v15, v17
	;; [unrolled: 1-line block ×5, first 2 shown]
	v_sub_f16_e32 v30, v13, v14
	v_sub_f16_e32 v31, v16, v18
	;; [unrolled: 1-line block ×7, first 2 shown]
	v_add_f16_e32 v59, v43, v45
	v_sub_f16_e32 v12, v12, v19
	v_sub_f16_e32 v61, v15, v17
	v_add_f16_e32 v13, v20, v13
	v_fma_f16 v20, -0.5, v21, v28
	v_add_f16_e32 v21, v24, v25
	v_fmac_f16_e32 v28, -0.5, v26
	v_add_f16_e32 v25, v34, v46
	v_fma_f16 v26, -0.5, v35, v33
	v_fmac_f16_e32 v33, -0.5, v39
	v_add_f16_e32 v15, v42, v15
	v_fma_f16 v34, -0.5, v44, v9
	v_fma_f16 v39, -0.5, v60, v43
	v_sub_f16_e32 v53, v47, v49
	v_fmac_f16_e32 v9, -0.5, v56
	v_fmac_f16_e32 v43, -0.5, v64
	v_sub_f16_e32 v41, v48, v50
	v_sub_f16_e32 v55, v19, v17
	;; [unrolled: 1-line block ×7, first 2 shown]
	v_add_f16_e32 v24, v30, v31
	v_add_f16_e32 v30, v37, v38
	;; [unrolled: 1-line block ×4, first 2 shown]
	v_fmamk_f16 v17, v52, 0x3b9c, v34
	v_fmamk_f16 v47, v12, 0xbb9c, v39
	v_sub_f16_e32 v23, v46, v48
	v_add_f16_e32 v25, v25, v48
	v_fmamk_f16 v46, v53, 0xbb9c, v9
	v_fmac_f16_e32 v9, 0x3b9c, v53
	v_fmamk_f16 v48, v61, 0x3b9c, v43
	v_fmac_f16_e32 v43, 0xbb9c, v61
	v_sub_f16_e32 v14, v14, v18
	v_fmac_f16_e32 v34, 0xbb9c, v52
	v_fmac_f16_e32 v39, 0x3b9c, v12
	v_add_f16_e32 v31, v40, v41
	v_add_f16_e32 v35, v54, v55
	;; [unrolled: 1-line block ×5, first 2 shown]
	v_fmamk_f16 v45, v36, 0x3b9c, v33
	v_fmac_f16_e32 v33, 0xbb9c, v36
	v_add_f16_e32 v38, v38, v49
	v_fmac_f16_e32 v17, 0x38b4, v53
	v_fmac_f16_e32 v47, 0xb8b4, v61
	v_add_f16_e32 v37, v57, v58
	v_fmamk_f16 v16, v22, 0x3b9c, v20
	v_fmac_f16_e32 v20, 0xbb9c, v22
	v_fmamk_f16 v42, v23, 0xbb9c, v28
	v_fmac_f16_e32 v28, 0x3b9c, v23
	v_fmac_f16_e32 v46, 0x38b4, v52
	v_fmac_f16_e32 v9, 0xb8b4, v52
	v_fmac_f16_e32 v48, 0xb8b4, v12
	v_fmac_f16_e32 v43, 0x38b4, v12
	v_fmamk_f16 v44, v14, 0xbb9c, v26
	v_fmac_f16_e32 v26, 0x3b9c, v14
	v_fmac_f16_e32 v34, 0xb8b4, v53
	;; [unrolled: 1-line block ×3, first 2 shown]
	v_add_f16_e32 v13, v13, v18
	v_add_f16_e32 v18, v25, v50
	v_fmac_f16_e32 v45, 0xb8b4, v14
	v_fmac_f16_e32 v33, 0x38b4, v14
	v_add_f16_e32 v14, v15, v19
	v_add_f16_e32 v15, v38, v51
	v_fmac_f16_e32 v17, 0x34f2, v35
	v_fmac_f16_e32 v47, 0x34f2, v40
	;; [unrolled: 1-line block ×14, first 2 shown]
	v_add_f16_e32 v12, v13, v14
	v_add_f16_e32 v19, v18, v15
	v_sub_f16_e32 v13, v13, v14
	v_sub_f16_e32 v14, v18, v15
	v_mul_f16_e32 v15, 0x38b4, v47
	v_mul_f16_e32 v23, 0xb8b4, v17
	v_fmac_f16_e32 v16, 0x34f2, v21
	v_fmac_f16_e32 v20, 0x34f2, v21
	;; [unrolled: 1-line block ×4, first 2 shown]
	v_mul_f16_e32 v18, 0x3b9c, v48
	v_mul_f16_e32 v21, 0x34f2, v9
	;; [unrolled: 1-line block ×4, first 2 shown]
	v_fmac_f16_e32 v44, 0x34f2, v30
	v_fmac_f16_e32 v26, 0x34f2, v30
	v_mul_f16_e32 v22, 0x3a79, v34
	v_mul_f16_e32 v30, 0x3a79, v39
	v_fmac_f16_e32 v15, 0x3a79, v17
	v_fmac_f16_e32 v23, 0x3a79, v47
	;; [unrolled: 1-line block ×4, first 2 shown]
	v_pack_b32_f16 v31, v13, v14
	v_fmac_f16_e32 v18, 0x34f2, v46
	v_fma_f16 v13, v43, 0x3b9c, -v21
	v_fmac_f16_e32 v24, 0x34f2, v48
	v_fma_f16 v17, v9, 0xbb9c, -v25
	v_fma_f16 v14, v39, 0x38b4, -v22
	v_fma_f16 v21, v34, 0xb8b4, -v30
	v_add_f16_e32 v22, v16, v15
	v_add_f16_e32 v35, v44, v23
	;; [unrolled: 1-line block ×8, first 2 shown]
	v_sub_f16_e32 v9, v16, v15
	v_sub_f16_e32 v15, v42, v18
	;; [unrolled: 1-line block ×5, first 2 shown]
	v_pack_b32_f16 v12, v12, v19
	v_sub_f16_e32 v14, v20, v14
	v_sub_f16_e32 v19, v33, v17
	;; [unrolled: 1-line block ×3, first 2 shown]
	v_pack_b32_f16 v20, v22, v35
	v_pack_b32_f16 v21, v25, v36
	;; [unrolled: 1-line block ×8, first 2 shown]
	ds_store_2addr_b32 v27, v12, v20 offset1:40
	ds_store_2addr_b32 v27, v21, v22 offset0:80 offset1:120
	ds_store_2addr_b32 v27, v23, v31 offset0:160 offset1:200
	;; [unrolled: 1-line block ×4, first 2 shown]
	global_wb scope:SCOPE_SE
	s_wait_dscnt 0x0
	s_barrier_signal -1
	s_barrier_wait -1
	global_inv scope:SCOPE_SE
	ds_load_b32 v20, v10
	ds_load_b32 v25, v10 offset:1600
	ds_load_b32 v24, v10 offset:3200
	;; [unrolled: 1-line block ×5, first 2 shown]
	v_mul_i32_i24_e32 v12, -12, v4
	s_delay_alu instid0(VALU_DEP_1)
	v_add_nc_u32_e32 v12, v8, v12
	s_and_saveexec_b32 s1, s0
	s_cbranch_execz .LBB0_19
; %bb.18:
	ds_load_b32 v9, v12
	ds_load_b32 v14, v10 offset:5760
	ds_load_b32 v1, v10 offset:8960
	;; [unrolled: 1-line block ×5, first 2 shown]
	s_wait_dscnt 0x5
	v_lshrrev_b32_e32 v13, 16, v9
	s_wait_dscnt 0x4
	v_lshrrev_b32_e32 v17, 16, v14
	;; [unrolled: 2-line block ×5, first 2 shown]
.LBB0_19:
	s_wait_alu 0xfffe
	s_or_b32 exec_lo, exec_lo, s1
	v_mul_u32_u24_e32 v8, 5, v0
	s_wait_dscnt 0x0
	v_lshrrev_b32_e32 v31, 16, v21
	v_lshrrev_b32_e32 v32, 16, v22
	;; [unrolled: 1-line block ×4, first 2 shown]
	v_lshlrev_b32_e32 v8, 2, v8
	v_lshrrev_b32_e32 v35, 16, v25
	v_lshrrev_b32_e32 v30, 16, v20
	s_clause 0x1
	global_load_b128 v[26:29], v8, s[4:5] offset:1584
	global_load_b32 v8, v8, s[4:5] offset:1600
	global_wb scope:SCOPE_SE
	s_wait_loadcnt 0x0
	s_barrier_signal -1
	s_barrier_wait -1
	global_inv scope:SCOPE_SE
	v_lshrrev_b32_e32 v37, 16, v27
	v_lshrrev_b32_e32 v38, 16, v28
	;; [unrolled: 1-line block ×5, first 2 shown]
	v_mul_f16_e32 v42, v37, v34
	v_mul_f16_e32 v37, v37, v24
	;; [unrolled: 1-line block ×10, first 2 shown]
	v_fma_f16 v24, v27, v24, -v42
	v_fmac_f16_e32 v37, v27, v34
	v_fma_f16 v23, v28, v23, -v43
	v_fmac_f16_e32 v38, v28, v33
	v_fma_f16 v22, v29, v22, -v44
	v_fmac_f16_e32 v39, v29, v32
	v_fma_f16 v21, v8, v21, -v45
	v_fmac_f16_e32 v40, v8, v31
	v_fma_f16 v25, v26, v25, -v41
	v_fmac_f16_e32 v36, v26, v35
	v_add_f16_e32 v26, v24, v22
	v_add_f16_e32 v29, v37, v39
	;; [unrolled: 1-line block ×5, first 2 shown]
	v_sub_f16_e32 v27, v37, v39
	v_add_f16_e32 v28, v30, v37
	v_sub_f16_e32 v24, v24, v22
	v_add_f16_e32 v31, v25, v23
	v_sub_f16_e32 v33, v38, v40
	v_add_f16_e32 v34, v36, v38
	v_sub_f16_e32 v23, v23, v21
	v_fmac_f16_e32 v20, -0.5, v26
	v_fmac_f16_e32 v30, -0.5, v29
	v_fmac_f16_e32 v25, -0.5, v32
	v_fmac_f16_e32 v36, -0.5, v35
	v_add_f16_e32 v8, v8, v22
	v_add_f16_e32 v22, v28, v39
	;; [unrolled: 1-line block ×3, first 2 shown]
	v_fmamk_f16 v28, v27, 0x3aee, v20
	v_fmac_f16_e32 v20, 0xbaee, v27
	v_fmamk_f16 v27, v24, 0xbaee, v30
	v_fmac_f16_e32 v30, 0x3aee, v24
	v_fmamk_f16 v24, v33, 0x3aee, v25
	v_fmamk_f16 v29, v23, 0xbaee, v36
	v_fmac_f16_e32 v25, 0xbaee, v33
	v_fmac_f16_e32 v36, 0x3aee, v23
	v_add_f16_e32 v23, v8, v21
	v_sub_f16_e32 v8, v8, v21
	v_mul_f16_e32 v21, 0x3aee, v29
	v_mul_f16_e32 v33, 0xbaee, v24
	v_add_f16_e32 v26, v34, v40
	v_mul_f16_e32 v32, -0.5, v25
	v_mul_f16_e32 v34, -0.5, v36
	v_fmac_f16_e32 v21, 0.5, v24
	v_fmac_f16_e32 v33, 0.5, v29
	v_add_f16_e32 v31, v22, v26
	v_fmac_f16_e32 v32, 0x3aee, v36
	v_fmac_f16_e32 v34, 0xbaee, v25
	v_sub_f16_e32 v22, v22, v26
	v_add_f16_e32 v24, v28, v21
	v_add_f16_e32 v26, v27, v33
	v_add_f16_e32 v25, v20, v32
	v_add_f16_e32 v29, v30, v34
	v_sub_f16_e32 v21, v28, v21
	v_sub_f16_e32 v27, v27, v33
	v_pack_b32_f16 v23, v23, v31
	v_sub_f16_e32 v20, v20, v32
	v_sub_f16_e32 v28, v30, v34
	v_pack_b32_f16 v8, v8, v22
	v_pack_b32_f16 v22, v24, v26
	;; [unrolled: 1-line block ×5, first 2 shown]
	ds_store_b32 v10, v23
	ds_store_b32 v10, v22 offset:1600
	ds_store_b32 v10, v24 offset:3200
	ds_store_b32 v10, v8 offset:4800
	ds_store_b32 v10, v21 offset:6400
	ds_store_b32 v10, v20 offset:8000
	s_and_saveexec_b32 s1, s0
	s_cbranch_execz .LBB0_21
; %bb.20:
	v_dual_mov_b32 v21, 0 :: v_dual_add_nc_u32 v8, 0xffffff60, v0
	s_delay_alu instid0(VALU_DEP_1) | instskip(NEXT) | instid1(VALU_DEP_1)
	v_cndmask_b32_e64 v8, v8, v4, s0
	v_mul_i32_i24_e32 v20, 5, v8
	s_delay_alu instid0(VALU_DEP_1) | instskip(NEXT) | instid1(VALU_DEP_1)
	v_lshlrev_b64_e32 v[20:21], 2, v[20:21]
	v_add_co_u32 v24, s0, s4, v20
	s_wait_alu 0xf1ff
	s_delay_alu instid0(VALU_DEP_2)
	v_add_co_ci_u32_e64 v25, s0, s5, v21, s0
	s_clause 0x1
	global_load_b128 v[20:23], v[24:25], off offset:1584
	global_load_b32 v8, v[24:25], off offset:1600
	v_lshrrev_b32_e32 v24, 16, v7
	s_wait_loadcnt 0x1
	v_lshrrev_b32_e32 v25, 16, v21
	v_lshrrev_b32_e32 v26, 16, v23
	;; [unrolled: 1-line block ×3, first 2 shown]
	s_wait_loadcnt 0x0
	v_lshrrev_b32_e32 v29, 16, v8
	v_lshrrev_b32_e32 v27, 16, v20
	v_mul_f16_e32 v30, v19, v25
	v_mul_f16_e32 v31, v24, v26
	;; [unrolled: 1-line block ×10, first 2 shown]
	v_fmac_f16_e32 v25, v19, v21
	v_fmac_f16_e32 v26, v24, v23
	v_fma_f16 v14, v14, v22, -v33
	v_fma_f16 v1, v1, v8, -v34
	v_fmac_f16_e32 v28, v17, v22
	v_fmac_f16_e32 v29, v5, v8
	v_fma_f16 v16, v16, v21, -v30
	v_fma_f16 v7, v7, v23, -v31
	;; [unrolled: 1-line block ×3, first 2 shown]
	v_fmac_f16_e32 v27, v18, v20
	v_add_f16_e32 v8, v25, v26
	v_add_f16_e32 v17, v14, v1
	;; [unrolled: 1-line block ×3, first 2 shown]
	v_sub_f16_e32 v5, v16, v7
	v_sub_f16_e32 v18, v28, v29
	;; [unrolled: 1-line block ×3, first 2 shown]
	v_add_f16_e32 v21, v13, v25
	v_add_f16_e32 v23, v16, v7
	;; [unrolled: 1-line block ×4, first 2 shown]
	v_fma_f16 v8, -0.5, v8, v13
	v_fma_f16 v13, -0.5, v17, v15
	;; [unrolled: 1-line block ×3, first 2 shown]
	v_add_f16_e32 v22, v27, v28
	v_add_f16_e32 v17, v21, v26
	;; [unrolled: 1-line block ×3, first 2 shown]
	v_fmamk_f16 v16, v18, 0xbaee, v13
	v_fmamk_f16 v21, v19, 0x3aee, v15
	v_fmac_f16_e32 v15, 0xbaee, v19
	v_fmac_f16_e32 v13, 0x3aee, v18
	v_add_f16_e32 v20, v22, v29
	v_add_f16_e32 v1, v14, v1
	v_sub_f16_e32 v24, v25, v26
	v_fma_f16 v9, -0.5, v23, v9
	v_mul_f16_e32 v22, 0xbaee, v13
	v_mul_f16_e32 v23, 0x3aee, v15
	v_fmamk_f16 v14, v5, 0x3aee, v8
	v_fmac_f16_e32 v8, 0xbaee, v5
	v_sub_f16_e32 v5, v17, v20
	v_sub_f16_e32 v19, v7, v1
	v_add_f16_e32 v17, v17, v20
	v_mul_f16_e32 v20, -0.5, v21
	v_add_f16_e32 v1, v7, v1
	v_mul_f16_e32 v7, -0.5, v16
	v_fmamk_f16 v18, v24, 0xbaee, v9
	v_fmac_f16_e32 v9, 0x3aee, v24
	v_fmac_f16_e32 v22, 0.5, v15
	v_fmac_f16_e32 v23, 0.5, v13
	v_fmac_f16_e32 v20, 0xbaee, v16
	v_fmac_f16_e32 v7, 0x3aee, v21
	v_pack_b32_f16 v1, v1, v17
	v_sub_f16_e32 v15, v8, v22
	v_add_f16_e32 v8, v8, v22
	v_add_f16_e32 v16, v9, v23
	v_sub_f16_e32 v13, v14, v20
	v_add_f16_e32 v14, v14, v20
	v_add_f16_e32 v17, v18, v7
	v_sub_f16_e32 v9, v9, v23
	v_sub_f16_e32 v7, v18, v7
	v_pack_b32_f16 v8, v16, v8
	v_pack_b32_f16 v5, v19, v5
	v_pack_b32_f16 v14, v17, v14
	v_pack_b32_f16 v9, v9, v15
	v_pack_b32_f16 v7, v7, v13
	ds_store_b32 v10, v1 offset:960
	ds_store_b32 v10, v8 offset:2560
	;; [unrolled: 1-line block ×6, first 2 shown]
.LBB0_21:
	s_wait_alu 0xfffe
	s_or_b32 exec_lo, exec_lo, s1
	global_wb scope:SCOPE_SE
	s_wait_dscnt 0x0
	s_barrier_signal -1
	s_barrier_wait -1
	global_inv scope:SCOPE_SE
	ds_load_b32 v5, v10
	v_lshlrev_b32_e32 v1, 2, v0
	s_mov_b32 s1, exec_lo
                                        ; implicit-def: $vgpr16
                                        ; implicit-def: $vgpr15
                                        ; implicit-def: $vgpr14
                                        ; implicit-def: $vgpr8_vgpr9
	s_delay_alu instid0(VALU_DEP_1)
	v_sub_nc_u32_e32 v13, 0, v1
	v_cmpx_ne_u32_e32 0, v0
	s_wait_alu 0xfffe
	s_xor_b32 s1, exec_lo, s1
	s_cbranch_execz .LBB0_23
; %bb.22:
	v_mov_b32_e32 v1, 0
	s_delay_alu instid0(VALU_DEP_1) | instskip(NEXT) | instid1(VALU_DEP_1)
	v_lshlrev_b64_e32 v[7:8], 2, v[0:1]
	v_add_co_u32 v7, s0, s4, v7
	s_wait_alu 0xf1ff
	s_delay_alu instid0(VALU_DEP_2)
	v_add_co_ci_u32_e64 v8, s0, s5, v8, s0
	global_load_b32 v7, v[7:8], off offset:9584
	ds_load_b32 v8, v13 offset:9600
	s_wait_dscnt 0x0
	v_pk_add_f16 v9, v5, v8 neg_lo:[0,1] neg_hi:[0,1]
	v_pk_add_f16 v5, v8, v5
	s_delay_alu instid0(VALU_DEP_1) | instskip(SKIP_1) | instid1(VALU_DEP_2)
	v_bfi_b32 v8, 0xffff, v9, v5
	v_bfi_b32 v5, 0xffff, v5, v9
	v_pk_mul_f16 v8, v8, 0.5 op_sel_hi:[1,0]
	s_delay_alu instid0(VALU_DEP_2) | instskip(SKIP_1) | instid1(VALU_DEP_2)
	v_pk_mul_f16 v14, v5, 0.5 op_sel_hi:[1,0]
	s_wait_loadcnt 0x0
	v_pk_mul_f16 v9, v7, v8 op_sel:[1,0]
	v_pk_mul_f16 v7, v7, v8 op_sel_hi:[0,1]
	s_delay_alu instid0(VALU_DEP_3) | instskip(NEXT) | instid1(VALU_DEP_3)
	v_lshrrev_b32_e32 v8, 16, v14
	v_pk_fma_f16 v5, v5, 0.5, v9 op_sel_hi:[1,0,1]
	v_lshrrev_b32_e32 v15, 16, v9
	v_sub_f16_e32 v9, v14, v9
	v_lshrrev_b32_e32 v14, 16, v7
	s_delay_alu instid0(VALU_DEP_4) | instskip(SKIP_2) | instid1(VALU_DEP_4)
	v_pk_add_f16 v16, v5, v7 op_sel:[0,1] op_sel_hi:[1,0]
	v_pk_add_f16 v5, v5, v7 op_sel:[0,1] op_sel_hi:[1,0] neg_lo:[0,1] neg_hi:[0,1]
	v_sub_f16_e32 v8, v15, v8
	v_sub_f16_e32 v15, v9, v14
	s_delay_alu instid0(VALU_DEP_3) | instskip(NEXT) | instid1(VALU_DEP_3)
	v_bfi_b32 v16, 0xffff, v16, v5
	v_sub_f16_e32 v14, v8, v7
	v_dual_mov_b32 v9, v1 :: v_dual_mov_b32 v8, v0
                                        ; implicit-def: $vgpr5
.LBB0_23:
	s_wait_alu 0xfffe
	s_and_not1_saveexec_b32 s0, s1
	s_cbranch_execz .LBB0_25
; %bb.24:
	s_wait_dscnt 0x0
	v_lshrrev_b32_e32 v8, 16, v5
	v_mov_b32_e32 v14, 0
	s_wait_alu 0xfffe
	v_alignbit_b32 v7, s0, v5, 16
	s_delay_alu instid0(VALU_DEP_3) | instskip(SKIP_4) | instid1(VALU_DEP_1)
	v_sub_f16_e32 v15, v5, v8
	v_mov_b32_e32 v8, 0
	v_mov_b32_e32 v9, 0
	ds_load_u16 v1, v14 offset:4802
	v_pk_add_f16 v7, v7, v5
	v_pack_b32_f16 v16, v7, 0
	s_wait_dscnt 0x0
	v_xor_b32_e32 v1, 0x8000, v1
	ds_store_b16 v14, v1 offset:4802
.LBB0_25:
	s_wait_alu 0xfffe
	s_or_b32 exec_lo, exec_lo, s0
	s_wait_dscnt 0x0
	v_mov_b32_e32 v5, 0
	s_delay_alu instid0(VALU_DEP_1) | instskip(SKIP_1) | instid1(VALU_DEP_1)
	v_lshlrev_b64_e32 v[17:18], 2, v[4:5]
	v_mov_b32_e32 v7, v5
	v_lshlrev_b64_e32 v[4:5], 2, v[6:7]
	s_delay_alu instid0(VALU_DEP_3) | instskip(SKIP_1) | instid1(VALU_DEP_4)
	v_add_co_u32 v17, s0, s4, v17
	s_wait_alu 0xf1ff
	v_add_co_ci_u32_e64 v18, s0, s5, v18, s0
	s_delay_alu instid0(VALU_DEP_3)
	v_add_co_u32 v4, s0, s4, v4
	global_load_b32 v1, v[17:18], off offset:9584
	s_wait_alu 0xf1ff
	v_add_co_ci_u32_e64 v5, s0, s5, v5, s0
	s_add_nc_u64 s[0:1], s[4:5], 0x2570
	global_load_b32 v17, v[4:5], off offset:9584
	v_lshlrev_b64_e32 v[4:5], 2, v[8:9]
	s_wait_alu 0xfffe
	s_delay_alu instid0(VALU_DEP_1) | instskip(SKIP_1) | instid1(VALU_DEP_2)
	v_add_co_u32 v6, s0, s0, v4
	s_wait_alu 0xf1ff
	v_add_co_ci_u32_e64 v7, s0, s1, v5, s0
	s_clause 0x1
	global_load_b32 v8, v[6:7], off offset:2880
	global_load_b32 v6, v[6:7], off offset:3840
	ds_store_b16 v13, v14 offset:9602
	ds_store_b32 v10, v16
	ds_store_b16 v13, v15 offset:9600
	ds_load_b32 v7, v12
	ds_load_b32 v9, v13 offset:8640
	s_wait_dscnt 0x0
	v_pk_add_f16 v14, v7, v9 neg_lo:[0,1] neg_hi:[0,1]
	v_pk_add_f16 v7, v7, v9
	s_delay_alu instid0(VALU_DEP_1) | instskip(SKIP_1) | instid1(VALU_DEP_2)
	v_bfi_b32 v9, 0xffff, v14, v7
	v_bfi_b32 v7, 0xffff, v7, v14
	v_pk_mul_f16 v9, v9, 0.5 op_sel_hi:[1,0]
	s_delay_alu instid0(VALU_DEP_2) | instskip(SKIP_1) | instid1(VALU_DEP_1)
	v_pk_mul_f16 v7, v7, 0.5 op_sel_hi:[1,0]
	s_wait_loadcnt 0x3
	v_pk_fma_f16 v14, v1, v9, v7 op_sel:[1,0,0]
	v_pk_mul_f16 v15, v1, v9 op_sel_hi:[0,1]
	v_pk_fma_f16 v16, v1, v9, v7 op_sel:[1,0,0] neg_lo:[1,0,0] neg_hi:[1,0,0]
	v_pk_fma_f16 v1, v1, v9, v7 op_sel:[1,0,0] neg_lo:[0,0,1] neg_hi:[0,0,1]
	s_delay_alu instid0(VALU_DEP_3) | instskip(SKIP_1) | instid1(VALU_DEP_4)
	v_pk_add_f16 v7, v14, v15 op_sel:[0,1] op_sel_hi:[1,0]
	v_pk_add_f16 v9, v14, v15 op_sel:[0,1] op_sel_hi:[1,0] neg_lo:[0,1] neg_hi:[0,1]
	v_pk_add_f16 v14, v16, v15 op_sel:[0,1] op_sel_hi:[1,0] neg_lo:[0,1] neg_hi:[0,1]
	s_delay_alu instid0(VALU_DEP_4) | instskip(NEXT) | instid1(VALU_DEP_3)
	v_pk_add_f16 v1, v1, v15 op_sel:[0,1] op_sel_hi:[1,0] neg_lo:[0,1] neg_hi:[0,1]
	v_bfi_b32 v7, 0xffff, v7, v9
	s_delay_alu instid0(VALU_DEP_2)
	v_bfi_b32 v1, 0xffff, v14, v1
	ds_store_b32 v12, v7
	ds_store_b32 v13, v1 offset:8640
	ds_load_b32 v1, v11
	ds_load_b32 v7, v13 offset:7680
	s_wait_dscnt 0x0
	v_pk_add_f16 v9, v1, v7 neg_lo:[0,1] neg_hi:[0,1]
	v_pk_add_f16 v1, v1, v7
	s_delay_alu instid0(VALU_DEP_1) | instskip(SKIP_1) | instid1(VALU_DEP_2)
	v_bfi_b32 v7, 0xffff, v9, v1
	v_bfi_b32 v1, 0xffff, v1, v9
	v_pk_mul_f16 v7, v7, 0.5 op_sel_hi:[1,0]
	s_delay_alu instid0(VALU_DEP_2) | instskip(SKIP_1) | instid1(VALU_DEP_2)
	v_pk_mul_f16 v1, v1, 0.5 op_sel_hi:[1,0]
	s_wait_loadcnt 0x2
	v_pk_mul_f16 v12, v17, v7 op_sel_hi:[0,1]
	s_delay_alu instid0(VALU_DEP_2) | instskip(SKIP_2) | instid1(VALU_DEP_3)
	v_pk_fma_f16 v9, v17, v7, v1 op_sel:[1,0,0]
	v_pk_fma_f16 v14, v17, v7, v1 op_sel:[1,0,0] neg_lo:[1,0,0] neg_hi:[1,0,0]
	v_pk_fma_f16 v1, v17, v7, v1 op_sel:[1,0,0] neg_lo:[0,0,1] neg_hi:[0,0,1]
	v_pk_add_f16 v7, v9, v12 op_sel:[0,1] op_sel_hi:[1,0]
	v_pk_add_f16 v9, v9, v12 op_sel:[0,1] op_sel_hi:[1,0] neg_lo:[0,1] neg_hi:[0,1]
	s_delay_alu instid0(VALU_DEP_4) | instskip(NEXT) | instid1(VALU_DEP_4)
	v_pk_add_f16 v14, v14, v12 op_sel:[0,1] op_sel_hi:[1,0] neg_lo:[0,1] neg_hi:[0,1]
	v_pk_add_f16 v1, v1, v12 op_sel:[0,1] op_sel_hi:[1,0] neg_lo:[0,1] neg_hi:[0,1]
	s_delay_alu instid0(VALU_DEP_3) | instskip(NEXT) | instid1(VALU_DEP_2)
	v_bfi_b32 v7, 0xffff, v7, v9
	v_bfi_b32 v1, 0xffff, v14, v1
	ds_store_b32 v11, v7
	ds_store_b32 v13, v1 offset:7680
	ds_load_b32 v1, v10 offset:2880
	ds_load_b32 v7, v13 offset:6720
	s_wait_dscnt 0x0
	v_pk_add_f16 v9, v1, v7 neg_lo:[0,1] neg_hi:[0,1]
	v_pk_add_f16 v1, v1, v7
	s_delay_alu instid0(VALU_DEP_1) | instskip(SKIP_1) | instid1(VALU_DEP_2)
	v_bfi_b32 v7, 0xffff, v9, v1
	v_bfi_b32 v1, 0xffff, v1, v9
	v_pk_mul_f16 v7, v7, 0.5 op_sel_hi:[1,0]
	s_delay_alu instid0(VALU_DEP_2) | instskip(SKIP_1) | instid1(VALU_DEP_2)
	v_pk_mul_f16 v9, v1, 0.5 op_sel_hi:[1,0]
	s_wait_loadcnt 0x1
	v_pk_mul_f16 v11, v8, v7 op_sel:[1,0]
	v_pk_mul_f16 v7, v8, v7 op_sel_hi:[0,1]
	s_delay_alu instid0(VALU_DEP_3) | instskip(NEXT) | instid1(VALU_DEP_3)
	v_lshrrev_b32_e32 v8, 16, v9
	v_lshrrev_b32_e32 v12, 16, v11
	v_pk_fma_f16 v1, v1, 0.5, v11 op_sel_hi:[1,0,1]
	v_sub_f16_e32 v9, v9, v11
	s_delay_alu instid0(VALU_DEP_3) | instskip(NEXT) | instid1(VALU_DEP_3)
	v_sub_f16_e32 v8, v12, v8
	v_pk_add_f16 v11, v1, v7 op_sel:[0,1] op_sel_hi:[1,0]
	v_pk_add_f16 v1, v1, v7 op_sel:[0,1] op_sel_hi:[1,0] neg_lo:[0,1] neg_hi:[0,1]
	v_lshrrev_b32_e32 v12, 16, v7
	s_delay_alu instid0(VALU_DEP_4) | instskip(NEXT) | instid1(VALU_DEP_3)
	v_sub_f16_e32 v7, v8, v7
	v_bfi_b32 v1, 0xffff, v11, v1
	s_delay_alu instid0(VALU_DEP_3)
	v_sub_f16_e32 v8, v9, v12
	ds_store_b16 v13, v7 offset:6722
	ds_store_b32 v10, v1 offset:2880
	ds_store_b16 v13, v8 offset:6720
	ds_load_b32 v1, v10 offset:3840
	ds_load_b32 v7, v13 offset:5760
	s_wait_dscnt 0x0
	v_pk_add_f16 v8, v1, v7 neg_lo:[0,1] neg_hi:[0,1]
	v_pk_add_f16 v1, v1, v7
	s_delay_alu instid0(VALU_DEP_1) | instskip(SKIP_1) | instid1(VALU_DEP_2)
	v_bfi_b32 v7, 0xffff, v8, v1
	v_bfi_b32 v1, 0xffff, v1, v8
	v_pk_mul_f16 v7, v7, 0.5 op_sel_hi:[1,0]
	s_delay_alu instid0(VALU_DEP_2) | instskip(SKIP_1) | instid1(VALU_DEP_2)
	v_pk_mul_f16 v1, v1, 0.5 op_sel_hi:[1,0]
	s_wait_loadcnt 0x0
	v_pk_mul_f16 v9, v6, v7 op_sel_hi:[0,1]
	s_delay_alu instid0(VALU_DEP_2) | instskip(SKIP_2) | instid1(VALU_DEP_3)
	v_pk_fma_f16 v8, v6, v7, v1 op_sel:[1,0,0]
	v_pk_fma_f16 v11, v6, v7, v1 op_sel:[1,0,0] neg_lo:[1,0,0] neg_hi:[1,0,0]
	v_pk_fma_f16 v1, v6, v7, v1 op_sel:[1,0,0] neg_lo:[0,0,1] neg_hi:[0,0,1]
	v_pk_add_f16 v6, v8, v9 op_sel:[0,1] op_sel_hi:[1,0]
	v_pk_add_f16 v7, v8, v9 op_sel:[0,1] op_sel_hi:[1,0] neg_lo:[0,1] neg_hi:[0,1]
	s_delay_alu instid0(VALU_DEP_4) | instskip(NEXT) | instid1(VALU_DEP_4)
	v_pk_add_f16 v8, v11, v9 op_sel:[0,1] op_sel_hi:[1,0] neg_lo:[0,1] neg_hi:[0,1]
	v_pk_add_f16 v1, v1, v9 op_sel:[0,1] op_sel_hi:[1,0] neg_lo:[0,1] neg_hi:[0,1]
	s_delay_alu instid0(VALU_DEP_3) | instskip(NEXT) | instid1(VALU_DEP_2)
	v_bfi_b32 v6, 0xffff, v6, v7
	v_bfi_b32 v1, 0xffff, v8, v1
	ds_store_b32 v10, v6 offset:3840
	ds_store_b32 v13, v1 offset:5760
	global_wb scope:SCOPE_SE
	s_wait_dscnt 0x0
	s_barrier_signal -1
	s_barrier_wait -1
	global_inv scope:SCOPE_SE
	s_and_saveexec_b32 s0, vcc_lo
	s_cbranch_execz .LBB0_28
; %bb.26:
	v_add_nc_u32_e32 v1, 0x780, v10
	v_add_nc_u32_e32 v11, 0xf00, v10
	;; [unrolled: 1-line block ×4, first 2 shown]
	ds_load_2addr_b32 v[6:7], v10 offset1:240
	ds_load_2addr_b32 v[8:9], v1 offset1:240
	;; [unrolled: 1-line block ×5, first 2 shown]
	v_add_co_u32 v1, vcc_lo, s8, v2
	s_wait_alu 0xfffd
	v_add_co_ci_u32_e32 v2, vcc_lo, s9, v3, vcc_lo
	s_delay_alu instid0(VALU_DEP_2) | instskip(SKIP_1) | instid1(VALU_DEP_2)
	v_add_co_u32 v3, vcc_lo, v1, v4
	s_wait_alu 0xfffd
	v_add_co_ci_u32_e32 v4, vcc_lo, v2, v5, vcc_lo
	v_cmp_eq_u32_e32 vcc_lo, 0xef, v0
	s_wait_dscnt 0x4
	s_clause 0x1
	global_store_b32 v[3:4], v6, off
	global_store_b32 v[3:4], v7, off offset:960
	s_wait_dscnt 0x3
	s_clause 0x1
	global_store_b32 v[3:4], v8, off offset:1920
	global_store_b32 v[3:4], v9, off offset:2880
	s_wait_dscnt 0x2
	s_clause 0x1
	global_store_b32 v[3:4], v10, off offset:3840
	;; [unrolled: 4-line block ×4, first 2 shown]
	global_store_b32 v[3:4], v15, off offset:8640
	s_and_b32 exec_lo, exec_lo, vcc_lo
	s_cbranch_execz .LBB0_28
; %bb.27:
	v_mov_b32_e32 v0, 0
	ds_load_b32 v0, v0 offset:9600
	s_wait_dscnt 0x0
	global_store_b32 v[1:2], v0, off offset:9600
.LBB0_28:
	s_nop 0
	s_sendmsg sendmsg(MSG_DEALLOC_VGPRS)
	s_endpgm
	.section	.rodata,"a",@progbits
	.p2align	6, 0x0
	.amdhsa_kernel fft_rtc_fwd_len2400_factors_4_10_10_6_wgs_240_tpt_240_halfLds_half_ip_CI_unitstride_sbrr_R2C_dirReg
		.amdhsa_group_segment_fixed_size 0
		.amdhsa_private_segment_fixed_size 0
		.amdhsa_kernarg_size 88
		.amdhsa_user_sgpr_count 2
		.amdhsa_user_sgpr_dispatch_ptr 0
		.amdhsa_user_sgpr_queue_ptr 0
		.amdhsa_user_sgpr_kernarg_segment_ptr 1
		.amdhsa_user_sgpr_dispatch_id 0
		.amdhsa_user_sgpr_private_segment_size 0
		.amdhsa_wavefront_size32 1
		.amdhsa_uses_dynamic_stack 0
		.amdhsa_enable_private_segment 0
		.amdhsa_system_sgpr_workgroup_id_x 1
		.amdhsa_system_sgpr_workgroup_id_y 0
		.amdhsa_system_sgpr_workgroup_id_z 0
		.amdhsa_system_sgpr_workgroup_info 0
		.amdhsa_system_vgpr_workitem_id 0
		.amdhsa_next_free_vgpr 71
		.amdhsa_next_free_sgpr 32
		.amdhsa_reserve_vcc 1
		.amdhsa_float_round_mode_32 0
		.amdhsa_float_round_mode_16_64 0
		.amdhsa_float_denorm_mode_32 3
		.amdhsa_float_denorm_mode_16_64 3
		.amdhsa_fp16_overflow 0
		.amdhsa_workgroup_processor_mode 1
		.amdhsa_memory_ordered 1
		.amdhsa_forward_progress 0
		.amdhsa_round_robin_scheduling 0
		.amdhsa_exception_fp_ieee_invalid_op 0
		.amdhsa_exception_fp_denorm_src 0
		.amdhsa_exception_fp_ieee_div_zero 0
		.amdhsa_exception_fp_ieee_overflow 0
		.amdhsa_exception_fp_ieee_underflow 0
		.amdhsa_exception_fp_ieee_inexact 0
		.amdhsa_exception_int_div_zero 0
	.end_amdhsa_kernel
	.text
.Lfunc_end0:
	.size	fft_rtc_fwd_len2400_factors_4_10_10_6_wgs_240_tpt_240_halfLds_half_ip_CI_unitstride_sbrr_R2C_dirReg, .Lfunc_end0-fft_rtc_fwd_len2400_factors_4_10_10_6_wgs_240_tpt_240_halfLds_half_ip_CI_unitstride_sbrr_R2C_dirReg
                                        ; -- End function
	.section	.AMDGPU.csdata,"",@progbits
; Kernel info:
; codeLenInByte = 8412
; NumSgprs: 34
; NumVgprs: 71
; ScratchSize: 0
; MemoryBound: 0
; FloatMode: 240
; IeeeMode: 1
; LDSByteSize: 0 bytes/workgroup (compile time only)
; SGPRBlocks: 4
; VGPRBlocks: 8
; NumSGPRsForWavesPerEU: 34
; NumVGPRsForWavesPerEU: 71
; Occupancy: 16
; WaveLimiterHint : 1
; COMPUTE_PGM_RSRC2:SCRATCH_EN: 0
; COMPUTE_PGM_RSRC2:USER_SGPR: 2
; COMPUTE_PGM_RSRC2:TRAP_HANDLER: 0
; COMPUTE_PGM_RSRC2:TGID_X_EN: 1
; COMPUTE_PGM_RSRC2:TGID_Y_EN: 0
; COMPUTE_PGM_RSRC2:TGID_Z_EN: 0
; COMPUTE_PGM_RSRC2:TIDIG_COMP_CNT: 0
	.text
	.p2alignl 7, 3214868480
	.fill 96, 4, 3214868480
	.type	__hip_cuid_a5c85179d32cae1f,@object ; @__hip_cuid_a5c85179d32cae1f
	.section	.bss,"aw",@nobits
	.globl	__hip_cuid_a5c85179d32cae1f
__hip_cuid_a5c85179d32cae1f:
	.byte	0                               ; 0x0
	.size	__hip_cuid_a5c85179d32cae1f, 1

	.ident	"AMD clang version 19.0.0git (https://github.com/RadeonOpenCompute/llvm-project roc-6.4.0 25133 c7fe45cf4b819c5991fe208aaa96edf142730f1d)"
	.section	".note.GNU-stack","",@progbits
	.addrsig
	.addrsig_sym __hip_cuid_a5c85179d32cae1f
	.amdgpu_metadata
---
amdhsa.kernels:
  - .args:
      - .actual_access:  read_only
        .address_space:  global
        .offset:         0
        .size:           8
        .value_kind:     global_buffer
      - .offset:         8
        .size:           8
        .value_kind:     by_value
      - .actual_access:  read_only
        .address_space:  global
        .offset:         16
        .size:           8
        .value_kind:     global_buffer
      - .actual_access:  read_only
        .address_space:  global
        .offset:         24
        .size:           8
        .value_kind:     global_buffer
      - .offset:         32
        .size:           8
        .value_kind:     by_value
      - .actual_access:  read_only
        .address_space:  global
        .offset:         40
        .size:           8
        .value_kind:     global_buffer
      - .actual_access:  read_only
        .address_space:  global
        .offset:         48
        .size:           8
        .value_kind:     global_buffer
      - .offset:         56
        .size:           4
        .value_kind:     by_value
      - .actual_access:  read_only
        .address_space:  global
        .offset:         64
        .size:           8
        .value_kind:     global_buffer
      - .actual_access:  read_only
        .address_space:  global
        .offset:         72
        .size:           8
        .value_kind:     global_buffer
      - .address_space:  global
        .offset:         80
        .size:           8
        .value_kind:     global_buffer
    .group_segment_fixed_size: 0
    .kernarg_segment_align: 8
    .kernarg_segment_size: 88
    .language:       OpenCL C
    .language_version:
      - 2
      - 0
    .max_flat_workgroup_size: 240
    .name:           fft_rtc_fwd_len2400_factors_4_10_10_6_wgs_240_tpt_240_halfLds_half_ip_CI_unitstride_sbrr_R2C_dirReg
    .private_segment_fixed_size: 0
    .sgpr_count:     34
    .sgpr_spill_count: 0
    .symbol:         fft_rtc_fwd_len2400_factors_4_10_10_6_wgs_240_tpt_240_halfLds_half_ip_CI_unitstride_sbrr_R2C_dirReg.kd
    .uniform_work_group_size: 1
    .uses_dynamic_stack: false
    .vgpr_count:     71
    .vgpr_spill_count: 0
    .wavefront_size: 32
    .workgroup_processor_mode: 1
amdhsa.target:   amdgcn-amd-amdhsa--gfx1201
amdhsa.version:
  - 1
  - 2
...

	.end_amdgpu_metadata
